;; amdgpu-corpus repo=ROCm/rocFFT kind=compiled arch=gfx1030 opt=O3
	.text
	.amdgcn_target "amdgcn-amd-amdhsa--gfx1030"
	.amdhsa_code_object_version 6
	.protected	fft_rtc_back_len1331_factors_11_11_11_wgs_121_tpt_121_dp_op_CI_CI_sbrc_unaligned ; -- Begin function fft_rtc_back_len1331_factors_11_11_11_wgs_121_tpt_121_dp_op_CI_CI_sbrc_unaligned
	.globl	fft_rtc_back_len1331_factors_11_11_11_wgs_121_tpt_121_dp_op_CI_CI_sbrc_unaligned
	.p2align	8
	.type	fft_rtc_back_len1331_factors_11_11_11_wgs_121_tpt_121_dp_op_CI_CI_sbrc_unaligned,@function
fft_rtc_back_len1331_factors_11_11_11_wgs_121_tpt_121_dp_op_CI_CI_sbrc_unaligned: ; @fft_rtc_back_len1331_factors_11_11_11_wgs_121_tpt_121_dp_op_CI_CI_sbrc_unaligned
; %bb.0:
	s_clause 0x2
	s_load_dwordx8 s[8:15], s[4:5], 0x0
	s_load_dwordx2 s[24:25], s[4:5], 0x20
	s_load_dwordx4 s[16:19], s[4:5], 0x58
	s_mov_b32 s26, 0
	s_mov_b64 s[28:29], 2
	s_waitcnt lgkmcnt(0)
	s_load_dword s33, s[12:13], 0x8
	s_load_dwordx4 s[20:23], s[14:15], 0x0
	v_cmp_gt_u64_e64 s27, s[10:11], 2
	s_waitcnt lgkmcnt(0)
	v_cvt_f32_u32_e32 v1, s33
	s_sub_i32 s1, 0, s33
	v_rcp_iflag_f32_e32 v1, v1
	v_mul_f32_e32 v1, 0x4f7ffffe, v1
	v_cvt_u32_f32_e32 v1, v1
	v_readfirstlane_b32 s0, v1
	s_mul_i32 s1, s1, s0
	s_mul_hi_u32 s1, s0, s1
	s_add_i32 s0, s0, s1
	s_mul_hi_u32 s7, s6, s0
	s_load_dwordx4 s[0:3], s[24:25], 0x0
	s_waitcnt lgkmcnt(0)
	s_mul_i32 s3, s7, s33
	s_add_i32 s4, s7, 1
	s_sub_i32 s3, s6, s3
	s_sub_i32 s5, s3, s33
	s_cmp_ge_u32 s3, s33
	s_cselect_b32 s4, s4, s7
	s_cselect_b32 s3, s5, s3
	s_add_i32 s5, s4, 1
	s_cmp_ge_u32 s3, s33
	s_mov_b32 s7, s26
	s_cselect_b32 s3, s5, s4
	s_and_b32 vcc_lo, exec_lo, s27
	s_mul_i32 s4, s3, s33
	s_sub_i32 s23, s6, s4
	s_mul_i32 s36, s23, s22
	s_mul_i32 s1, s1, s23
	s_mul_hi_u32 s5, s0, s23
	s_mul_i32 s4, s0, s23
	s_add_i32 s5, s5, s1
	s_cbranch_vccz .LBB0_9
; %bb.1:
	s_mov_b32 s0, 3
	s_mov_b32 s37, s33
.LBB0_2:                                ; =>This Inner Loop Header: Depth=1
	s_lshl_b64 s[30:31], s[28:29], 3
	s_mov_b32 s1, -1
	s_add_u32 s28, s12, s30
	s_addc_u32 s29, s13, s31
                                        ; implicit-def: $sgpr34_sgpr35
	s_load_dwordx2 s[28:29], s[28:29], 0x0
	s_waitcnt lgkmcnt(0)
	s_mov_b32 s27, s29
	s_cmp_lg_u64 s[26:27], 0
	s_cbranch_scc0 .LBB0_4
; %bb.3:                                ;   in Loop: Header=BB0_2 Depth=1
	v_cvt_f32_u32_e32 v1, s28
	v_cvt_f32_u32_e32 v2, s29
	s_sub_u32 s34, 0, s28
	s_subb_u32 s35, 0, s29
	v_fmac_f32_e32 v1, 0x4f800000, v2
	v_rcp_f32_e32 v1, v1
	v_mul_f32_e32 v1, 0x5f7ffffc, v1
	v_mul_f32_e32 v2, 0x2f800000, v1
	v_trunc_f32_e32 v2, v2
	v_fmac_f32_e32 v1, 0xcf800000, v2
	v_cvt_u32_f32_e32 v2, v2
	v_cvt_u32_f32_e32 v1, v1
	v_readfirstlane_b32 s1, v2
	v_readfirstlane_b32 s27, v1
	s_mul_i32 s38, s34, s1
	s_mul_hi_u32 s40, s34, s27
	s_mul_i32 s39, s35, s27
	s_add_i32 s38, s40, s38
	s_mul_i32 s41, s34, s27
	s_add_i32 s38, s38, s39
	s_mul_hi_u32 s40, s27, s41
	s_mul_hi_u32 s42, s1, s41
	s_mul_i32 s39, s1, s41
	s_mul_hi_u32 s41, s27, s38
	s_mul_i32 s27, s27, s38
	s_mul_hi_u32 s43, s1, s38
	s_add_u32 s27, s40, s27
	s_addc_u32 s40, 0, s41
	s_add_u32 s27, s27, s39
	s_mul_i32 s38, s1, s38
	s_addc_u32 s27, s40, s42
	s_addc_u32 s39, s43, 0
	s_add_u32 s27, s27, s38
	s_addc_u32 s38, 0, s39
	v_add_co_u32 v1, s27, v1, s27
	s_cmp_lg_u32 s27, 0
	s_addc_u32 s1, s1, s38
	v_readfirstlane_b32 s27, v1
	s_mul_i32 s38, s34, s1
	s_mul_hi_u32 s39, s34, s27
	s_mul_i32 s35, s35, s27
	s_add_i32 s38, s39, s38
	s_mul_i32 s34, s34, s27
	s_add_i32 s38, s38, s35
	s_mul_hi_u32 s39, s1, s34
	s_mul_i32 s40, s1, s34
	s_mul_hi_u32 s34, s27, s34
	s_mul_hi_u32 s41, s27, s38
	s_mul_i32 s27, s27, s38
	s_mul_hi_u32 s35, s1, s38
	s_add_u32 s27, s34, s27
	s_addc_u32 s34, 0, s41
	s_add_u32 s27, s27, s40
	s_mul_i32 s38, s1, s38
	s_addc_u32 s27, s34, s39
	s_addc_u32 s34, s35, 0
	s_add_u32 s27, s27, s38
	s_addc_u32 s34, 0, s34
	v_add_co_u32 v1, s27, v1, s27
	s_cmp_lg_u32 s27, 0
	s_addc_u32 s1, s1, s34
	v_readfirstlane_b32 s27, v1
	s_mul_i32 s34, s3, s1
	s_mul_hi_u32 s1, s3, s1
	s_mul_hi_u32 s27, s3, s27
	s_add_u32 s27, s27, s34
	s_addc_u32 s27, 0, s1
	s_mul_i32 s1, s29, s27
	s_mul_hi_u32 s34, s28, s27
	s_mul_i32 s35, s28, s27
	s_add_i32 s34, s34, s1
	v_sub_co_u32 v1, s1, s3, s35
	s_sub_i32 s35, 0, s34
	s_cmp_lg_u32 s1, 0
	v_sub_co_u32 v2, s38, v1, s28
	s_subb_u32 s35, s35, s29
	s_cmp_lg_u32 s38, 0
	v_readfirstlane_b32 s38, v2
	s_subb_u32 s35, s35, 0
	s_cmp_ge_u32 s35, s29
	s_cselect_b32 s39, -1, 0
	s_cmp_ge_u32 s38, s28
	s_cselect_b32 s38, -1, 0
	s_cmp_eq_u32 s35, s29
	s_cselect_b32 s35, s38, s39
	s_add_u32 s38, s27, 1
	s_addc_u32 s39, 0, 0
	s_add_u32 s40, s27, 2
	s_addc_u32 s41, 0, 0
	s_cmp_lg_u32 s35, 0
	s_cselect_b32 s38, s40, s38
	s_cselect_b32 s35, s41, s39
	s_cmp_lg_u32 s1, 0
	v_readfirstlane_b32 s1, v1
	s_subb_u32 s34, 0, s34
	s_cmp_ge_u32 s34, s29
	s_cselect_b32 s39, -1, 0
	s_cmp_ge_u32 s1, s28
	s_cselect_b32 s1, -1, 0
	s_cmp_eq_u32 s34, s29
	s_cselect_b32 s1, s1, s39
	s_cmp_lg_u32 s1, 0
	s_mov_b32 s1, 0
	s_cselect_b32 s35, s35, 0
	s_cselect_b32 s34, s38, s27
.LBB0_4:                                ;   in Loop: Header=BB0_2 Depth=1
	s_andn2_b32 vcc_lo, exec_lo, s1
	s_cbranch_vccnz .LBB0_6
; %bb.5:                                ;   in Loop: Header=BB0_2 Depth=1
	v_cvt_f32_u32_e32 v1, s28
	s_sub_i32 s27, 0, s28
	v_rcp_iflag_f32_e32 v1, v1
	v_mul_f32_e32 v1, 0x4f7ffffe, v1
	v_cvt_u32_f32_e32 v1, v1
	v_readfirstlane_b32 s1, v1
	s_mul_i32 s27, s27, s1
	s_mul_hi_u32 s27, s1, s27
	s_add_i32 s1, s1, s27
	s_mul_hi_u32 s1, s3, s1
	s_mul_i32 s27, s1, s28
	s_add_i32 s34, s1, 1
	s_sub_i32 s27, s3, s27
	s_sub_i32 s35, s27, s28
	s_cmp_ge_u32 s27, s28
	s_cselect_b32 s1, s34, s1
	s_cselect_b32 s27, s35, s27
	s_add_i32 s34, s1, 1
	s_cmp_ge_u32 s27, s28
	s_mov_b32 s35, s26
	s_cselect_b32 s34, s34, s1
.LBB0_6:                                ;   in Loop: Header=BB0_2 Depth=1
	s_mul_i32 s1, s34, s29
	s_mul_hi_u32 s27, s34, s28
	s_mul_i32 s29, s34, s28
	s_add_i32 s1, s27, s1
	s_mul_i32 s27, s35, s28
	s_mul_i32 s37, s37, s28
	s_add_i32 s1, s1, s27
	s_sub_u32 s3, s3, s29
	s_subb_u32 s27, 0, s1
	s_add_u32 s38, s14, s30
	s_addc_u32 s39, s15, s31
	s_load_dwordx2 s[38:39], s[38:39], 0x0
	s_waitcnt lgkmcnt(0)
	s_mul_i32 s1, s38, s27
	s_mul_hi_u32 s29, s38, s3
	s_mul_i32 s35, s39, s3
	s_add_i32 s1, s29, s1
	s_mul_i32 s29, s38, s3
	s_add_i32 s1, s1, s35
	s_add_u32 s36, s29, s36
	s_addc_u32 s7, s1, s7
	s_add_u32 s30, s24, s30
	s_addc_u32 s31, s25, s31
	s_mov_b32 s1, s26
	s_load_dwordx2 s[30:31], s[30:31], 0x0
	s_mov_b64 s[28:29], s[0:1]
	v_cmp_ge_u64_e64 s1, s[0:1], s[10:11]
	s_waitcnt lgkmcnt(0)
	s_mul_i32 s27, s30, s27
	s_mul_hi_u32 s35, s30, s3
	s_mul_i32 s31, s31, s3
	s_add_i32 s27, s35, s27
	s_mul_i32 s3, s30, s3
	s_add_i32 s27, s27, s31
	s_add_u32 s4, s3, s4
	s_addc_u32 s5, s27, s5
	s_and_b32 vcc_lo, exec_lo, s1
	s_add_i32 s0, s0, 1
	s_cbranch_vccnz .LBB0_8
; %bb.7:                                ;   in Loop: Header=BB0_2 Depth=1
	s_mov_b32 s3, s34
	s_branch .LBB0_2
.LBB0_8:
	v_cvt_f32_u32_e32 v1, s37
	s_sub_i32 s1, 0, s37
	v_rcp_iflag_f32_e32 v1, v1
	v_mul_f32_e32 v1, 0x4f7ffffe, v1
	v_cvt_u32_f32_e32 v1, v1
	v_readfirstlane_b32 s0, v1
	s_mul_i32 s1, s1, s0
	s_mul_hi_u32 s1, s0, s1
	s_add_i32 s0, s0, s1
	s_mul_hi_u32 s0, s6, s0
	s_mul_i32 s1, s0, s37
	s_add_i32 s3, s0, 1
	s_sub_i32 s1, s6, s1
	s_sub_i32 s6, s1, s37
	s_cmp_ge_u32 s1, s37
	s_cselect_b32 s0, s3, s0
	s_cselect_b32 s1, s6, s1
	s_add_i32 s3, s0, 1
	s_cmp_ge_u32 s1, s37
	s_cselect_b32 s3, s3, s0
.LBB0_9:
	s_lshl_b64 s[10:11], s[10:11], 3
	v_lshl_add_u32 v53, v0, 4, 0
	s_add_u32 s0, s14, s10
	s_addc_u32 s1, s15, s11
	s_load_dwordx2 s[0:1], s[0:1], 0x0
	s_waitcnt lgkmcnt(0)
	s_mul_i32 s1, s1, s3
	s_mul_hi_u32 s6, s0, s3
	s_mul_i32 s0, s0, s3
	s_add_i32 s6, s6, s1
	s_add_u32 s0, s0, s36
	s_addc_u32 s1, s6, s7
	s_add_u32 s6, s24, s10
	s_addc_u32 s7, s25, s11
	s_add_i32 s23, s23, 1
	s_load_dwordx2 s[6:7], s[6:7], 0x0
	s_cmp_le_u32 s23, s33
	s_mov_b32 s10, -1
	s_cbranch_scc0 .LBB0_11
; %bb.10:
	v_add_nc_u32_e32 v8, 0x79, v0
	v_mad_u64_u32 v[1:2], null, s20, v0, 0
	v_mov_b32_e32 v7, 0x16b
	v_cmp_gt_u32_e32 vcc_lo, 0x3c8, v0
	v_mad_u64_u32 v[3:4], null, s20, v8, 0
	v_add_nc_u32_e32 v10, 0xf2, v0
	s_lshl_b64 s[10:11], s[0:1], 4
	v_mov_b32_e32 v15, 0x25d
	s_add_u32 s10, s16, s10
	s_addc_u32 s11, s17, s11
	v_mov_b32_e32 v26, 0
	v_mad_u64_u32 v[5:6], null, s21, v0, v[2:3]
	v_cndmask_b32_e32 v2, 0xfffffc38, v7, vcc_lo
	v_mad_u64_u32 v[6:7], null, s20, v10, 0
	v_mov_b32_e32 v22, 0x2d6
	v_mov_b32_e32 v34, 0x3c8
	v_add_nc_u32_e32 v12, v0, v2
	v_mov_b32_e32 v2, v5
	v_mad_u64_u32 v[4:5], null, s21, v8, v[4:5]
	v_mov_b32_e32 v5, v7
	v_mad_u64_u32 v[8:9], null, s20, v12, 0
	v_lshlrev_b64 v[1:2], 4, v[1:2]
	v_mov_b32_e32 v37, 0x4ba
	v_mad_u64_u32 v[10:11], null, s21, v10, v[5:6]
	v_mov_b32_e32 v11, 0x1e4
	v_lshlrev_b64 v[3:4], 4, v[3:4]
	v_add_co_u32 v1, vcc_lo, s10, v1
	v_add_co_ci_u32_e32 v2, vcc_lo, s11, v2, vcc_lo
	v_mov_b32_e32 v5, v9
	v_cmp_gt_u32_e32 vcc_lo, 0x34f, v0
	v_mov_b32_e32 v7, v10
	v_lshl_add_u32 v45, v0, 4, 0
	v_mad_u64_u32 v[9:10], null, s21, v12, v[5:6]
	v_cndmask_b32_e32 v5, 0xfffffcb1, v11, vcc_lo
	v_add_co_u32 v10, vcc_lo, s10, v3
	v_add_co_ci_u32_e32 v11, vcc_lo, s11, v4, vcc_lo
	v_lshlrev_b64 v[3:4], 4, v[6:7]
	v_add_nc_u32_e32 v14, v0, v5
	v_cmp_lt_u32_e32 vcc_lo, 0x3c7, v0
	v_mad_u64_u32 v[17:18], null, s20, v14, 0
	v_cndmask_b32_e64 v25, 0, s22, vcc_lo
	v_add_co_u32 v12, vcc_lo, s10, v3
	v_add_co_ci_u32_e32 v13, vcc_lo, s11, v4, vcc_lo
	v_cmp_gt_u32_e32 vcc_lo, 0x2d6, v0
	v_lshlrev_b64 v[3:4], 4, v[8:9]
	v_mov_b32_e32 v7, v18
	v_lshlrev_b64 v[5:6], 4, v[25:26]
	v_cndmask_b32_e32 v8, 0xfffffd2a, v15, vcc_lo
	v_add_co_u32 v9, vcc_lo, s10, v3
	v_add_co_ci_u32_e32 v15, vcc_lo, s11, v4, vcc_lo
	v_mad_u64_u32 v[3:4], null, s21, v14, v[7:8]
	v_add_nc_u32_e32 v21, v0, v8
	v_add_co_u32 v14, vcc_lo, v9, v5
	v_add_co_ci_u32_e32 v15, vcc_lo, v15, v6, vcc_lo
	v_cmp_gt_u32_e32 vcc_lo, 0x25d, v0
	v_mov_b32_e32 v18, v3
	v_mad_u64_u32 v[19:20], null, s20, v21, 0
	s_clause 0x1
	global_load_dwordx4 v[1:4], v[1:2], off
	global_load_dwordx4 v[5:8], v[10:11], off
	v_cndmask_b32_e32 v22, 0xfffffda3, v22, vcc_lo
	v_lshlrev_b64 v[17:18], 4, v[17:18]
	v_cmp_lt_u32_e32 vcc_lo, 0x34e, v0
	s_clause 0x1
	global_load_dwordx4 v[9:12], v[12:13], off
	global_load_dwordx4 v[13:16], v[14:15], off
	v_mad_u64_u32 v[20:21], null, s21, v21, v[20:21]
	v_cndmask_b32_e64 v25, 0, s22, vcc_lo
	v_add_co_u32 v21, vcc_lo, s10, v17
	v_add_nc_u32_e32 v24, v0, v22
	v_add_co_ci_u32_e32 v22, vcc_lo, s11, v18, vcc_lo
	v_cmp_lt_u32_e32 vcc_lo, 0x2d5, v0
	v_lshlrev_b64 v[17:18], 4, v[25:26]
	v_mad_u64_u32 v[27:28], null, s20, v24, 0
	v_lshlrev_b64 v[19:20], 4, v[19:20]
	v_cndmask_b32_e64 v25, 0, s22, vcc_lo
	v_add_co_u32 v17, vcc_lo, v21, v17
	v_add_co_ci_u32_e32 v18, vcc_lo, v22, v18, vcc_lo
	v_lshlrev_b64 v[22:23], 4, v[25:26]
	v_mov_b32_e32 v21, v28
	v_mov_b32_e32 v28, 0x34f
	v_cmp_gt_u32_e32 vcc_lo, 0x1e4, v0
	v_mad_u64_u32 v[24:25], null, s21, v24, v[21:22]
	v_cndmask_b32_e32 v21, 0xfffffe1c, v28, vcc_lo
	v_add_co_u32 v19, vcc_lo, s10, v19
	v_add_co_ci_u32_e32 v20, vcc_lo, s11, v20, vcc_lo
	v_add_nc_u32_e32 v33, v0, v21
	v_add_co_u32 v21, vcc_lo, v19, v22
	v_add_co_ci_u32_e32 v22, vcc_lo, v20, v23, vcc_lo
	v_mov_b32_e32 v28, v24
	v_cmp_lt_u32_e32 vcc_lo, 0x25c, v0
	v_mad_u64_u32 v[29:30], null, s20, v33, 0
	s_clause 0x1
	global_load_dwordx4 v[17:20], v[17:18], off
	global_load_dwordx4 v[21:24], v[21:22], off
	v_lshlrev_b64 v[27:28], 4, v[27:28]
	v_cndmask_b32_e64 v25, 0, s22, vcc_lo
	v_cmp_gt_u32_e32 vcc_lo, 0x16b, v0
	v_lshlrev_b64 v[31:32], 4, v[25:26]
	v_mov_b32_e32 v25, v30
	v_cndmask_b32_e32 v30, 0xfffffe95, v34, vcc_lo
	v_add_co_u32 v34, vcc_lo, s10, v27
	v_add_co_ci_u32_e32 v35, vcc_lo, s11, v28, vcc_lo
	v_mad_u64_u32 v[27:28], null, s21, v33, v[25:26]
	v_add_nc_u32_e32 v36, v0, v30
	v_add_co_u32 v31, vcc_lo, v34, v31
	v_add_co_ci_u32_e32 v32, vcc_lo, v35, v32, vcc_lo
	v_mov_b32_e32 v25, 0x441
	v_cmp_gt_u32_e32 vcc_lo, 0xf2, v0
	v_mad_u64_u32 v[33:34], null, s20, v36, 0
	v_mov_b32_e32 v30, v27
	v_cndmask_b32_e32 v35, 0xffffff0e, v25, vcc_lo
	v_cmp_lt_u32_e32 vcc_lo, 0x1e3, v0
	v_lshlrev_b64 v[27:28], 4, v[29:30]
	v_mov_b32_e32 v29, v34
	v_add_nc_u32_e32 v39, v0, v35
	v_cndmask_b32_e64 v25, 0, s22, vcc_lo
	v_cmp_gt_u32_e32 vcc_lo, 0x79, v0
	v_mad_u64_u32 v[29:30], null, s21, v36, v[29:30]
	v_mad_u64_u32 v[35:36], null, s20, v39, 0
	v_cndmask_b32_e32 v34, 0xffffff87, v37, vcc_lo
	v_add_co_u32 v41, vcc_lo, s10, v27
	v_add_co_ci_u32_e32 v42, vcc_lo, s11, v28, vcc_lo
	v_add_nc_u32_e32 v40, v0, v34
	v_mov_b32_e32 v30, v36
	v_mov_b32_e32 v34, v29
	v_cmp_lt_u32_e32 vcc_lo, 0x16a, v0
	v_lshlrev_b64 v[37:38], 4, v[25:26]
	v_mad_u64_u32 v[27:28], null, s20, v40, 0
	v_mad_u64_u32 v[29:30], null, s21, v39, v[30:31]
	v_cndmask_b32_e64 v25, 0, s22, vcc_lo
	v_lshlrev_b64 v[33:34], 4, v[33:34]
	v_add_co_u32 v37, vcc_lo, v41, v37
	v_add_co_ci_u32_e32 v38, vcc_lo, v42, v38, vcc_lo
	v_mad_u64_u32 v[39:40], null, s21, v40, v[28:29]
	v_lshlrev_b64 v[40:41], 4, v[25:26]
	v_add_co_u32 v25, vcc_lo, s10, v33
	v_mov_b32_e32 v36, v29
	v_add_co_ci_u32_e32 v34, vcc_lo, s11, v34, vcc_lo
	v_add_co_u32 v33, vcc_lo, v25, v40
	v_lshlrev_b64 v[29:30], 4, v[35:36]
	v_add_co_ci_u32_e32 v34, vcc_lo, v34, v41, vcc_lo
	v_cmp_lt_u32_e32 vcc_lo, 0xf1, v0
	v_mov_b32_e32 v28, v39
	v_cndmask_b32_e64 v25, 0, s22, vcc_lo
	v_add_co_u32 v35, vcc_lo, s10, v29
	v_add_co_ci_u32_e32 v36, vcc_lo, s11, v30, vcc_lo
	v_cmp_lt_u32_e32 vcc_lo, 0x78, v0
	v_lshlrev_b64 v[27:28], 4, v[27:28]
	v_lshlrev_b64 v[29:30], 4, v[25:26]
	v_cndmask_b32_e64 v25, 0, s22, vcc_lo
	v_add_co_u32 v27, vcc_lo, s10, v27
	v_add_co_ci_u32_e32 v28, vcc_lo, s11, v28, vcc_lo
	v_lshlrev_b64 v[25:26], 4, v[25:26]
	v_add_co_u32 v39, vcc_lo, v35, v29
	v_add_co_ci_u32_e32 v40, vcc_lo, v36, v30, vcc_lo
	s_mov_b32 s10, 0
	v_add_co_u32 v41, vcc_lo, v27, v25
	v_add_co_ci_u32_e32 v42, vcc_lo, v28, v26, vcc_lo
	s_clause 0x4
	global_load_dwordx4 v[25:28], v[31:32], off
	global_load_dwordx4 v[29:32], v[37:38], off
	global_load_dwordx4 v[33:36], v[33:34], off
	global_load_dwordx4 v[37:40], v[39:40], off
	global_load_dwordx4 v[41:44], v[41:42], off
	s_waitcnt vmcnt(10)
	ds_write_b128 v45, v[1:4]
	s_waitcnt vmcnt(9)
	ds_write_b128 v45, v[5:8] offset:1936
	s_waitcnt vmcnt(8)
	ds_write_b128 v45, v[9:12] offset:3872
	;; [unrolled: 2-line block ×10, first 2 shown]
.LBB0_11:
	s_andn2_b32 vcc_lo, exec_lo, s10
	s_cbranch_vccnz .LBB0_15
; %bb.12:
	v_mad_u64_u32 v[1:2], null, s20, v0, 0
	s_lshl_b64 s[0:1], s[0:1], 4
	v_mov_b32_e32 v4, v53
	s_add_u32 s0, s16, s0
	s_addc_u32 s1, s17, s1
	s_mul_i32 s10, s21, 0x790
	s_mul_hi_u32 s11, s20, 0x790
	v_mad_u64_u32 v[2:3], null, s21, v0, v[2:3]
	v_mov_b32_e32 v3, v0
	s_add_i32 s10, s11, s10
	s_mul_i32 s11, s20, 0x790
	v_lshlrev_b64 v[1:2], 4, v[1:2]
	v_add_co_u32 v1, vcc_lo, s0, v1
	v_add_co_ci_u32_e32 v2, vcc_lo, s1, v2, vcc_lo
	s_mov_b32 s1, 0
	v_add_co_u32 v1, vcc_lo, v1, 8
	v_add_co_ci_u32_e32 v2, vcc_lo, 0, v2, vcc_lo
	.p2align	6
.LBB0_13:                               ; =>This Inner Loop Header: Depth=1
	global_load_dwordx4 v[5:8], v[1:2], off offset:-8
	v_add_nc_u32_e32 v3, 0x79, v3
	v_add_co_u32 v1, vcc_lo, v1, s11
	v_add_co_ci_u32_e32 v2, vcc_lo, s10, v2, vcc_lo
	v_cmp_lt_u32_e64 s0, 0x532, v3
	s_or_b32 s1, s0, s1
	s_waitcnt vmcnt(0)
	ds_write_b128 v4, v[5:8]
	v_add_nc_u32_e32 v4, 0x790, v4
	s_andn2_b32 exec_lo, exec_lo, s1
	s_cbranch_execnz .LBB0_13
; %bb.14:
	s_or_b32 exec_lo, exec_lo, s1
.LBB0_15:
	v_mul_u32_u24_e32 v1, 0x21e, v0
	s_waitcnt lgkmcnt(0)
	s_barrier
	buffer_gl0_inv
	s_mov_b32 s12, 0xf8bb580b
	v_lshrrev_b32_e32 v1, 16, v1
	s_mov_b32 s24, 0x8764f0ba
	s_mov_b32 s20, 0xd9c712b6
	;; [unrolled: 1-line block ×4, first 2 shown]
	v_mul_lo_u16 v1, 0x79, v1
	s_mov_b32 s21, 0x3fda9628
	s_mov_b32 s0, 0x43842ef
	;; [unrolled: 1-line block ×4, first 2 shown]
	v_sub_nc_u16 v43, v0, v1
	s_mov_b32 s14, 0xbb3a28a1
	s_mov_b32 s16, 0xfd768dbf
	;; [unrolled: 1-line block ×4, first 2 shown]
	v_and_b32_e32 v45, 0xffff, v43
	s_mov_b32 s34, 0x9bcd5057
	s_mov_b32 s11, 0xbfed1bb4
	;; [unrolled: 1-line block ×4, first 2 shown]
	v_lshl_add_u32 v54, v45, 4, 0
	s_mov_b32 s23, 0xbfc2375f
	s_mov_b32 s27, 0xbfe4f49e
	;; [unrolled: 1-line block ×4, first 2 shown]
	ds_read_b128 v[5:8], v54
	ds_read_b128 v[46:49], v54 offset:1936
	ds_read_b128 v[55:58], v54 offset:3872
	;; [unrolled: 1-line block ×10, first 2 shown]
	s_mov_b32 s29, 0x3fed1bb4
	s_mov_b32 s30, s12
	;; [unrolled: 1-line block ×9, first 2 shown]
	s_waitcnt lgkmcnt(0)
	s_barrier
	buffer_gl0_inv
	v_mov_b32_e32 v52, 0x790
	v_add_f64 v[41:42], v[5:6], v[46:47]
	v_add_f64 v[50:51], v[7:8], v[48:49]
	v_mov_b32_e32 v241, 4
	v_add_f64 v[75:76], v[48:49], -v[3:4]
	v_add_f64 v[85:86], v[55:56], v[13:14]
	v_add_f64 v[87:88], v[55:56], -v[13:14]
	v_add_f64 v[48:49], v[48:49], v[3:4]
	;; [unrolled: 2-line block ×3, first 2 shown]
	v_add_f64 v[89:90], v[46:47], v[1:2]
	v_add_f64 v[46:47], v[46:47], -v[1:2]
	v_add_f64 v[77:78], v[61:62], v[11:12]
	v_add_f64 v[79:80], v[61:62], -v[11:12]
	;; [unrolled: 2-line block ×6, first 2 shown]
	v_add_f64 v[29:30], v[69:70], v[73:74]
	v_add_f64 v[55:56], v[41:42], v[55:56]
	;; [unrolled: 1-line block ×3, first 2 shown]
	v_add_f64 v[35:36], v[69:70], -v[73:74]
	v_mul_f64 v[57:58], v[75:76], s[12:13]
	v_mul_f64 v[93:94], v[75:76], s[0:1]
	;; [unrolled: 1-line block ×19, first 2 shown]
	v_add_f64 v[55:56], v[55:56], v[59:60]
	v_add_f64 v[50:51], v[50:51], v[61:62]
	v_mul_f64 v[59:60], v[83:84], s[34:35]
	v_fma_f64 v[157:158], v[89:90], s[24:25], v[57:58]
	v_fma_f64 v[161:162], v[89:90], s[22:23], v[93:94]
	v_fma_f64 v[93:94], v[89:90], s[22:23], -v[93:94]
	v_fma_f64 v[163:164], v[46:47], s[30:31], v[97:98]
	v_fma_f64 v[167:168], v[46:47], s[28:29], v[99:100]
	v_mul_f64 v[81:82], v[81:82], s[30:31]
	v_mul_f64 v[83:84], v[83:84], s[24:25]
	v_fma_f64 v[57:58], v[89:90], s[24:25], -v[57:58]
	v_fma_f64 v[159:160], v[89:90], s[20:21], v[91:92]
	v_fma_f64 v[91:92], v[89:90], s[20:21], -v[91:92]
	v_fma_f64 v[165:166], v[89:90], s[26:27], v[95:96]
	v_fma_f64 v[97:98], v[46:47], s[12:13], v[97:98]
	v_fma_f64 v[95:96], v[89:90], s[26:27], -v[95:96]
	v_fma_f64 v[169:170], v[89:90], s[34:35], v[75:76]
	;; [unrolled: 3-line block ×3, first 2 shown]
	v_fma_f64 v[101:102], v[46:47], s[0:1], v[101:102]
	v_fma_f64 v[171:172], v[87:88], s[28:29], v[107:108]
	v_add_f64 v[55:56], v[55:56], v[63:64]
	v_add_f64 v[50:51], v[50:51], v[65:66]
	v_fma_f64 v[65:66], v[46:47], s[38:39], v[103:104]
	v_fma_f64 v[175:176], v[87:88], s[38:39], v[115:116]
	v_add_f64 v[157:158], v[5:6], v[157:158]
	v_mul_f64 v[123:124], v[79:80], s[28:29]
	v_add_f64 v[163:164], v[7:8], v[163:164]
	v_add_f64 v[167:168], v[7:8], v[167:168]
	v_fma_f64 v[177:178], v[85:86], s[34:35], v[121:122]
	v_fma_f64 v[121:122], v[85:86], s[34:35], -v[121:122]
	v_add_f64 v[93:94], v[5:6], v[93:94]
	v_mul_f64 v[117:118], v[79:80], s[40:41]
	v_mul_f64 v[119:120], v[77:78], s[34:35]
	;; [unrolled: 1-line block ×8, first 2 shown]
	v_fma_f64 v[173:174], v[85:86], s[26:27], v[113:114]
	v_fma_f64 v[179:180], v[87:88], s[16:17], v[59:60]
	;; [unrolled: 1-line block ×3, first 2 shown]
	v_add_f64 v[55:56], v[55:56], v[67:68]
	v_add_f64 v[50:51], v[50:51], v[69:70]
	v_fma_f64 v[67:68], v[46:47], s[14:15], v[103:104]
	v_fma_f64 v[103:104], v[46:47], s[40:41], v[48:49]
	;; [unrolled: 1-line block ×6, first 2 shown]
	v_fma_f64 v[127:128], v[85:86], s[22:23], -v[127:128]
	v_fma_f64 v[129:130], v[87:88], s[36:37], v[129:130]
	v_fma_f64 v[185:186], v[85:86], s[24:25], v[81:82]
	v_fma_f64 v[81:82], v[85:86], s[24:25], -v[81:82]
	v_fma_f64 v[105:106], v[85:86], s[20:21], -v[105:106]
	;; [unrolled: 1-line block ×3, first 2 shown]
	v_fma_f64 v[69:70], v[87:88], s[12:13], v[83:84]
	v_fma_f64 v[113:114], v[33:34], s[36:37], v[111:112]
	v_add_f64 v[159:160], v[5:6], v[159:160]
	v_add_f64 v[89:90], v[7:8], v[89:90]
	v_add_f64 v[101:102], v[7:8], v[101:102]
	v_add_f64 v[65:66], v[7:8], v[65:66]
	v_add_f64 v[75:76], v[5:6], v[75:76]
	v_add_f64 v[161:162], v[5:6], v[161:162]
	v_add_f64 v[55:56], v[55:56], v[71:72]
	v_add_f64 v[50:51], v[50:51], v[73:74]
	v_fma_f64 v[71:72], v[87:88], s[30:31], v[83:84]
	v_fma_f64 v[83:84], v[87:88], s[10:11], v[107:108]
	;; [unrolled: 1-line block ×4, first 2 shown]
	v_add_f64 v[48:49], v[48:49], v[157:158]
	v_add_f64 v[157:158], v[171:172], v[163:164]
	;; [unrolled: 1-line block ×8, first 2 shown]
	v_mul_f64 v[41:42], v[39:40], s[14:15]
	v_mul_f64 v[141:142], v[39:40], s[12:13]
	v_fma_f64 v[189:190], v[31:32], s[20:21], v[123:124]
	v_fma_f64 v[123:124], v[31:32], s[20:21], -v[123:124]
	v_add_f64 v[93:94], v[121:122], v[93:94]
	v_mul_f64 v[133:134], v[39:40], s[36:37]
	v_mul_f64 v[135:136], v[37:38], s[22:23]
	;; [unrolled: 1-line block ×3, first 2 shown]
	v_add_f64 v[17:18], v[55:56], v[17:18]
	v_add_f64 v[19:20], v[50:51], v[19:20]
	v_mul_f64 v[77:78], v[39:40], s[16:17]
	v_mul_f64 v[155:156], v[37:38], s[34:35]
	v_fma_f64 v[115:116], v[31:32], s[34:35], v[117:118]
	v_fma_f64 v[187:188], v[33:34], s[16:17], v[119:120]
	;; [unrolled: 1-line block ×6, first 2 shown]
	v_add_f64 v[159:160], v[173:174], v[159:160]
	v_add_f64 v[65:66], v[183:184], v[65:66]
	;; [unrolled: 1-line block ×6, first 2 shown]
	v_mul_f64 v[39:40], v[39:40], s[28:29]
	v_mul_f64 v[37:38], v[37:38], s[20:21]
	v_fma_f64 v[55:56], v[31:32], s[24:25], v[137:138]
	v_fma_f64 v[137:138], v[31:32], s[24:25], -v[137:138]
	v_add_f64 v[165:166], v[181:182], v[165:166]
	v_add_f64 v[161:162], v[177:178], v[161:162]
	;; [unrolled: 1-line block ×7, first 2 shown]
	v_fma_f64 v[99:100], v[33:34], s[0:1], v[111:112]
	v_add_f64 v[89:90], v[179:180], v[89:90]
	v_add_f64 v[67:68], v[129:130], v[67:68]
	;; [unrolled: 1-line block ×3, first 2 shown]
	v_mul_f64 v[145:146], v[35:36], s[16:17]
	v_mul_f64 v[147:148], v[29:30], s[34:35]
	v_fma_f64 v[193:194], v[25:26], s[26:27], v[41:42]
	v_mul_f64 v[153:154], v[35:36], s[14:15]
	v_fma_f64 v[201:202], v[25:26], s[24:25], v[141:142]
	v_fma_f64 v[141:142], v[25:26], s[24:25], -v[141:142]
	v_add_f64 v[93:94], v[123:124], v[93:94]
	v_mul_f64 v[149:150], v[35:36], s[30:31]
	v_fma_f64 v[199:200], v[27:28], s[0:1], v[135:136]
	v_add_f64 v[113:114], v[115:116], v[159:160]
	v_add_f64 v[115:116], v[187:188], v[163:164]
	;; [unrolled: 1-line block ×10, first 2 shown]
	v_fma_f64 v[19:20], v[31:32], s[26:27], v[79:80]
	v_fma_f64 v[71:72], v[33:34], s[38:39], v[61:62]
	v_add_f64 v[46:47], v[83:84], v[46:47]
	v_fma_f64 v[79:80], v[31:32], s[26:27], -v[79:80]
	v_fma_f64 v[61:62], v[33:34], s[14:15], v[61:62]
	v_add_f64 v[7:8], v[87:88], v[7:8]
	v_fma_f64 v[87:88], v[31:32], s[22:23], -v[109:110]
	v_fma_f64 v[31:32], v[31:32], s[34:35], -v[117:118]
	v_add_f64 v[57:58], v[127:128], v[95:96]
	v_mul_f64 v[107:108], v[35:36], s[28:29]
	v_mul_f64 v[35:36], v[35:36], s[0:1]
	;; [unrolled: 1-line block ×4, first 2 shown]
	v_fma_f64 v[197:198], v[25:26], s[22:23], v[133:134]
	v_add_f64 v[55:56], v[55:56], v[165:166]
	v_fma_f64 v[103:104], v[25:26], s[34:35], v[77:78]
	v_add_f64 v[1:2], v[9:10], v[1:2]
	v_fma_f64 v[9:10], v[33:34], s[12:13], v[139:140]
	v_fma_f64 v[33:34], v[33:34], s[40:41], v[119:120]
	v_add_f64 v[13:14], v[105:106], v[13:14]
	v_add_f64 v[5:6], v[85:86], v[5:6]
	v_mul_f64 v[109:110], v[29:30], s[20:21]
	v_add_f64 v[19:20], v[19:20], v[91:92]
	v_add_f64 v[69:70], v[71:72], v[69:70]
	v_fma_f64 v[71:72], v[25:26], s[20:21], v[39:40]
	v_fma_f64 v[91:92], v[27:28], s[10:11], v[37:38]
	v_add_f64 v[75:76], v[79:80], v[75:76]
	v_fma_f64 v[39:40], v[25:26], s[20:21], -v[39:40]
	v_add_f64 v[46:47], v[99:100], v[46:47]
	v_mul_f64 v[29:30], v[29:30], s[22:23]
	v_add_f64 v[15:16], v[61:62], v[15:16]
	v_fma_f64 v[37:38], v[27:28], s[28:29], v[37:38]
	v_fma_f64 v[203:204], v[27:28], s[30:31], v[143:144]
	v_add_f64 v[157:158], v[189:190], v[161:162]
	v_add_f64 v[89:90], v[191:192], v[89:90]
	;; [unrolled: 1-line block ×3, first 2 shown]
	v_fma_f64 v[143:144], v[27:28], s[12:13], v[143:144]
	v_add_f64 v[59:60], v[125:126], v[59:60]
	v_fma_f64 v[105:106], v[27:28], s[40:41], v[155:156]
	v_add_f64 v[9:10], v[9:10], v[67:68]
	v_add_f64 v[7:8], v[33:34], v[7:8]
	v_fma_f64 v[33:34], v[27:28], s[14:15], v[131:132]
	v_add_f64 v[13:14], v[87:88], v[13:14]
	v_add_f64 v[5:6], v[31:32], v[5:6]
	v_fma_f64 v[31:32], v[25:26], s[26:27], -v[41:42]
	v_fma_f64 v[67:68], v[25:26], s[34:35], -v[77:78]
	v_fma_f64 v[77:78], v[27:28], s[16:17], v[155:156]
	v_fma_f64 v[25:26], v[25:26], s[22:23], -v[133:134]
	v_fma_f64 v[27:28], v[27:28], s[36:37], v[135:136]
	v_fma_f64 v[17:18], v[21:22], s[34:35], v[145:146]
	;; [unrolled: 1-line block ×3, first 2 shown]
	v_add_f64 v[48:49], v[193:194], v[48:49]
	v_add_f64 v[93:94], v[141:142], v[93:94]
	v_fma_f64 v[41:42], v[21:22], s[26:27], -v[153:154]
	v_add_f64 v[95:96], v[199:200], v[115:116]
	v_add_f64 v[69:70], v[91:92], v[69:70]
	v_fma_f64 v[91:92], v[21:22], s[22:23], v[35:36]
	v_add_f64 v[39:40], v[39:40], v[75:76]
	v_fma_f64 v[35:36], v[21:22], s[22:23], -v[35:36]
	v_fma_f64 v[115:116], v[23:24], s[16:17], v[147:148]
	v_fma_f64 v[101:102], v[21:22], s[24:25], v[149:150]
	;; [unrolled: 1-line block ×3, first 2 shown]
	v_add_f64 v[81:82], v[197:198], v[113:114]
	v_add_f64 v[46:47], v[33:34], v[46:47]
	v_add_f64 v[55:56], v[103:104], v[55:56]
	v_fma_f64 v[79:80], v[23:24], s[10:11], v[109:110]
	v_fma_f64 v[87:88], v[23:24], s[28:29], v[109:110]
	v_add_f64 v[37:38], v[37:38], v[15:16]
	v_fma_f64 v[75:76], v[23:24], s[0:1], v[29:30]
	v_add_f64 v[103:104], v[31:32], v[13:14]
	v_fma_f64 v[109:110], v[21:22], s[34:35], -v[145:146]
	v_add_f64 v[97:98], v[201:202], v[157:158]
	v_add_f64 v[89:90], v[203:204], v[89:90]
	v_fma_f64 v[83:84], v[21:22], s[26:27], v[153:154]
	v_fma_f64 v[85:86], v[23:24], s[38:39], v[63:64]
	v_add_f64 v[57:58], v[67:68], v[57:58]
	v_add_f64 v[67:68], v[77:78], v[9:10]
	v_fma_f64 v[77:78], v[21:22], s[20:21], -v[107:108]
	v_add_f64 v[59:60], v[143:144], v[59:60]
	v_fma_f64 v[61:62], v[23:24], s[14:15], v[63:64]
	v_add_f64 v[63:64], v[105:106], v[65:66]
	v_fma_f64 v[65:66], v[21:22], s[20:21], v[107:108]
	;; [unrolled: 2-line block ×3, first 2 shown]
	v_add_f64 v[105:106], v[25:26], v[5:6]
	v_add_f64 v[107:108], v[27:28], v[7:8]
	v_fma_f64 v[111:112], v[21:22], s[24:25], -v[149:150]
	v_fma_f64 v[113:114], v[23:24], s[30:31], v[151:152]
	v_add_f64 v[3:4], v[11:12], v[3:4]
	v_add_f64 v[5:6], v[17:18], v[48:49]
	;; [unrolled: 1-line block ×4, first 2 shown]
	v_mul_lo_u16 v41, 0xbb, v43
	v_add_f64 v[33:34], v[35:36], v[39:40]
	v_add_f64 v[39:40], v[115:116], v[46:47]
	;; [unrolled: 1-line block ×4, first 2 shown]
	v_lshrrev_b16 v46, 11, v41
	v_add_f64 v[35:36], v[75:76], v[37:38]
	v_add_f64 v[37:38], v[109:110], v[103:104]
	;; [unrolled: 1-line block ×9, first 2 shown]
	v_mad_u32_u24 v41, 0xa0, v45, v54
	v_mul_lo_u16 v42, v46, 11
	v_add_f64 v[29:30], v[91:92], v[71:72]
	v_add_f64 v[31:32], v[99:100], v[69:70]
	;; [unrolled: 1-line block ×4, first 2 shown]
	ds_write_b128 v41, v[1:4]
	ds_write_b128 v41, v[5:8] offset:16
	v_sub_nc_u16 v47, v43, v42
	v_mov_b32_e32 v1, 10
	ds_write_b128 v41, v[9:12] offset:32
	ds_write_b128 v41, v[13:16] offset:48
	;; [unrolled: 1-line block ×4, first 2 shown]
	v_mul_u32_u24_sdwa v1, v47, v1 dst_sel:DWORD dst_unused:UNUSED_PAD src0_sel:BYTE_0 src1_sel:DWORD
	ds_write_b128 v41, v[33:36] offset:96
	ds_write_b128 v41, v[25:28] offset:112
	;; [unrolled: 1-line block ×5, first 2 shown]
	s_waitcnt lgkmcnt(0)
	s_barrier
	v_lshlrev_b32_e32 v1, 4, v1
	buffer_gl0_inv
	s_clause 0x9
	global_load_dwordx4 v[7:10], v1, s[8:9]
	global_load_dwordx4 v[11:14], v1, s[8:9] offset:144
	global_load_dwordx4 v[15:18], v1, s[8:9] offset:16
	;; [unrolled: 1-line block ×9, first 2 shown]
	ds_read_b128 v[35:38], v54 offset:1936
	ds_read_b128 v[63:66], v54 offset:19360
	;; [unrolled: 1-line block ×10, first 2 shown]
	ds_read_b128 v[1:4], v54
	s_waitcnt vmcnt(0) lgkmcnt(0)
	s_barrier
	buffer_gl0_inv
	s_mul_i32 s7, s7, s3
	v_mul_f64 v[5:6], v[35:36], v[9:10]
	v_mul_f64 v[39:40], v[63:64], v[13:14]
	;; [unrolled: 1-line block ×20, first 2 shown]
	v_fma_f64 v[41:42], v[37:38], v[7:8], -v[5:6]
	v_fma_f64 v[5:6], v[65:66], v[11:12], -v[39:40]
	;; [unrolled: 1-line block ×3, first 2 shown]
	v_fma_f64 v[43:44], v[35:36], v[7:8], v[105:106]
	v_fma_f64 v[7:8], v[63:64], v[11:12], v[107:108]
	v_fma_f64 v[9:10], v[73:74], v[19:20], -v[99:100]
	v_fma_f64 v[17:18], v[77:78], v[23:24], -v[101:102]
	;; [unrolled: 1-line block ×3, first 2 shown]
	v_fma_f64 v[39:40], v[67:68], v[15:16], v[109:110]
	v_fma_f64 v[11:12], v[71:72], v[19:20], v[21:22]
	;; [unrolled: 1-line block ×4, first 2 shown]
	v_fma_f64 v[19:20], v[89:90], v[48:49], -v[115:116]
	v_fma_f64 v[23:24], v[87:88], v[48:49], v[50:51]
	v_fma_f64 v[25:26], v[93:94], v[59:60], -v[119:120]
	v_fma_f64 v[27:28], v[91:92], v[59:60], v[61:62]
	v_fma_f64 v[33:34], v[83:84], v[31:32], v[111:112]
	v_fma_f64 v[35:36], v[85:86], v[31:32], -v[113:114]
	v_fma_f64 v[29:30], v[95:96], v[55:56], v[117:118]
	v_fma_f64 v[31:32], v[97:98], v[55:56], -v[57:58]
	v_add_f64 v[48:49], v[41:42], -v[5:6]
	v_add_f64 v[50:51], v[41:42], v[5:6]
	v_add_f64 v[41:42], v[3:4], v[41:42]
	;; [unrolled: 1-line block ×3, first 2 shown]
	v_add_f64 v[63:64], v[43:44], -v[7:8]
	v_add_f64 v[43:44], v[1:2], v[43:44]
	v_add_f64 v[55:56], v[37:38], -v[9:10]
	v_add_f64 v[57:58], v[37:38], v[9:10]
	v_add_f64 v[65:66], v[39:40], v[11:12]
	v_add_f64 v[67:68], v[39:40], -v[11:12]
	v_add_f64 v[59:60], v[17:18], -v[13:14]
	v_add_f64 v[69:70], v[21:22], v[15:16]
	v_add_f64 v[71:72], v[17:18], v[13:14]
	v_add_f64 v[73:74], v[21:22], -v[15:16]
	v_add_f64 v[77:78], v[33:34], v[23:24]
	v_add_f64 v[75:76], v[35:36], -v[19:20]
	;; [unrolled: 2-line block ×4, first 2 shown]
	v_add_f64 v[85:86], v[29:30], v[27:28]
	v_mul_f64 v[91:92], v[48:49], s[12:13]
	v_mul_f64 v[93:94], v[48:49], s[10:11]
	v_add_f64 v[37:38], v[41:42], v[37:38]
	v_mul_f64 v[95:96], v[48:49], s[0:1]
	v_mul_f64 v[97:98], v[48:49], s[14:15]
	;; [unrolled: 3-line block ×3, first 2 shown]
	v_mul_f64 v[101:102], v[50:51], s[20:21]
	v_mul_f64 v[103:104], v[50:51], s[22:23]
	;; [unrolled: 1-line block ×6, first 2 shown]
	v_add_f64 v[89:90], v[29:30], -v[27:28]
	v_mul_f64 v[111:112], v[59:60], s[0:1]
	v_mul_f64 v[113:114], v[55:56], s[14:15]
	;; [unrolled: 1-line block ×7, first 2 shown]
	v_fma_f64 v[167:168], v[61:62], s[24:25], v[91:92]
	v_fma_f64 v[91:92], v[61:62], s[24:25], -v[91:92]
	v_add_f64 v[17:18], v[37:38], v[17:18]
	v_fma_f64 v[169:170], v[61:62], s[20:21], v[93:94]
	v_fma_f64 v[93:94], v[61:62], s[20:21], -v[93:94]
	v_add_f64 v[21:22], v[39:40], v[21:22]
	v_fma_f64 v[171:172], v[61:62], s[22:23], v[95:96]
	v_fma_f64 v[95:96], v[61:62], s[22:23], -v[95:96]
	v_fma_f64 v[173:174], v[61:62], s[26:27], v[97:98]
	v_fma_f64 v[97:98], v[61:62], s[26:27], -v[97:98]
	;; [unrolled: 2-line block ×3, first 2 shown]
	v_fma_f64 v[61:62], v[63:64], s[30:31], v[99:100]
	v_mul_f64 v[125:126], v[55:56], s[36:37]
	v_mul_f64 v[127:128], v[57:58], s[22:23]
	;; [unrolled: 1-line block ×11, first 2 shown]
	v_add_f64 v[17:18], v[17:18], v[35:36]
	v_mul_f64 v[135:136], v[75:76], s[14:15]
	v_mul_f64 v[137:138], v[75:76], s[36:37]
	v_add_f64 v[21:22], v[21:22], v[33:34]
	v_mul_f64 v[139:140], v[75:76], s[12:13]
	v_mul_f64 v[141:142], v[75:76], s[16:17]
	;; [unrolled: 1-line block ×18, first 2 shown]
	v_fma_f64 v[99:100], v[63:64], s[12:13], v[99:100]
	v_fma_f64 v[177:178], v[63:64], s[28:29], v[101:102]
	;; [unrolled: 1-line block ×9, first 2 shown]
	v_add_f64 v[21:22], v[21:22], v[29:30]
	v_add_f64 v[17:18], v[17:18], v[31:32]
	v_fma_f64 v[63:64], v[65:66], s[20:21], v[107:108]
	v_fma_f64 v[185:186], v[67:68], s[28:29], v[109:110]
	v_add_f64 v[29:30], v[1:2], v[167:168]
	v_add_f64 v[31:32], v[3:4], v[61:62]
	v_fma_f64 v[107:108], v[65:66], s[20:21], -v[107:108]
	v_fma_f64 v[109:110], v[67:68], s[10:11], v[109:110]
	v_fma_f64 v[187:188], v[65:66], s[26:27], v[113:114]
	;; [unrolled: 1-line block ×5, first 2 shown]
	v_fma_f64 v[119:120], v[65:66], s[34:35], -v[119:120]
	v_fma_f64 v[121:122], v[67:68], s[40:41], v[121:122]
	v_fma_f64 v[195:196], v[65:66], s[22:23], v[125:126]
	;; [unrolled: 1-line block ×3, first 2 shown]
	v_fma_f64 v[125:126], v[65:66], s[22:23], -v[125:126]
	v_fma_f64 v[127:128], v[67:68], s[36:37], v[127:128]
	v_fma_f64 v[199:200], v[65:66], s[24:25], v[55:56]
	v_fma_f64 v[55:56], v[65:66], s[24:25], -v[55:56]
	v_fma_f64 v[65:66], v[65:66], s[26:27], -v[113:114]
	v_fma_f64 v[113:114], v[67:68], s[12:13], v[57:58]
	v_fma_f64 v[57:58], v[67:68], s[30:31], v[57:58]
	v_fma_f64 v[67:68], v[67:68], s[14:15], v[115:116]
	v_fma_f64 v[115:116], v[69:70], s[22:23], v[111:112]
	v_fma_f64 v[111:112], v[69:70], s[22:23], -v[111:112]
	v_fma_f64 v[201:202], v[69:70], s[20:21], v[123:124]
	v_fma_f64 v[123:124], v[69:70], s[20:21], -v[123:124]
	v_fma_f64 v[203:204], v[69:70], s[24:25], v[41:42]
	v_fma_f64 v[41:42], v[69:70], s[24:25], -v[41:42]
	v_fma_f64 v[205:206], v[69:70], s[26:27], v[43:44]
	v_fma_f64 v[43:44], v[69:70], s[26:27], -v[43:44]
	v_fma_f64 v[207:208], v[69:70], s[34:35], v[117:118]
	v_fma_f64 v[69:70], v[69:70], s[34:35], -v[117:118]
	v_fma_f64 v[37:38], v[73:74], s[36:37], v[59:60]
	v_fma_f64 v[39:40], v[73:74], s[0:1], v[59:60]
	v_fma_f64 v[59:60], v[73:74], s[10:11], v[129:130]
	v_fma_f64 v[117:118], v[73:74], s[28:29], v[129:130]
	v_fma_f64 v[129:130], v[73:74], s[30:31], v[131:132]
	v_fma_f64 v[131:132], v[73:74], s[12:13], v[131:132]
	v_fma_f64 v[209:210], v[73:74], s[38:39], v[133:134]
	v_fma_f64 v[133:134], v[73:74], s[14:15], v[133:134]
	v_fma_f64 v[211:212], v[73:74], s[16:17], v[71:72]
	v_fma_f64 v[71:72], v[73:74], s[40:41], v[71:72]
	v_fma_f64 v[73:74], v[77:78], s[26:27], v[135:136]
	v_fma_f64 v[135:136], v[77:78], s[26:27], -v[135:136]
	v_fma_f64 v[213:214], v[77:78], s[24:25], v[139:140]
	v_fma_f64 v[139:140], v[77:78], s[24:25], -v[139:140]
	v_fma_f64 v[215:216], v[77:78], s[34:35], v[141:142]
	v_fma_f64 v[141:142], v[77:78], s[34:35], -v[141:142]
	v_fma_f64 v[217:218], v[77:78], s[20:21], v[75:76]
	v_fma_f64 v[75:76], v[77:78], s[20:21], -v[75:76]
	v_fma_f64 v[219:220], v[77:78], s[22:23], v[137:138]
	v_fma_f64 v[77:78], v[77:78], s[22:23], -v[137:138]
	v_fma_f64 v[137:138], v[81:82], s[38:39], v[143:144]
	v_fma_f64 v[143:144], v[81:82], s[14:15], v[143:144]
	v_fma_f64 v[221:222], v[81:82], s[30:31], v[147:148]
	v_fma_f64 v[147:148], v[81:82], s[12:13], v[147:148]
	v_fma_f64 v[223:224], v[81:82], s[40:41], v[149:150]
	v_fma_f64 v[149:150], v[81:82], s[16:17], v[149:150]
	v_fma_f64 v[225:226], v[81:82], s[10:11], v[79:80]
	;; [unrolled: 20-line block ×3, first 2 shown]
	v_fma_f64 v[165:166], v[89:90], s[0:1], v[165:166]
	v_fma_f64 v[239:240], v[89:90], s[12:13], v[87:88]
	;; [unrolled: 1-line block ×3, first 2 shown]
	v_add_f64 v[61:62], v[1:2], v[91:92]
	v_add_f64 v[89:90], v[3:4], v[99:100]
	;; [unrolled: 1-line block ×108, first 2 shown]
	v_mul_u32_u24_sdwa v5, v46, v52 dst_sel:DWORD dst_unused:UNUSED_PAD src0_sel:WORD_0 src1_sel:DWORD
	v_lshlrev_b32_sdwa v6, v241, v47 dst_sel:DWORD dst_unused:UNUSED_PAD src0_sel:DWORD src1_sel:BYTE_0
	v_mul_u32_u24_e32 v7, 10, v45
	v_add3_u32 v5, 0, v5, v6
	v_lshlrev_b32_e32 v45, 4, v7
	ds_write_b128 v5, v[1:4] offset:176
	ds_write_b128 v5, v[13:16] offset:352
	;; [unrolled: 1-line block ×10, first 2 shown]
	ds_write_b128 v5, v[48:51]
	s_waitcnt lgkmcnt(0)
	s_barrier
	buffer_gl0_inv
	s_clause 0x9
	global_load_dwordx4 v[1:4], v45, s[8:9] offset:1760
	global_load_dwordx4 v[17:20], v45, s[8:9] offset:1904
	;; [unrolled: 1-line block ×10, first 2 shown]
	ds_read_b128 v[55:58], v54 offset:1936
	ds_read_b128 v[59:62], v54 offset:19360
	;; [unrolled: 1-line block ×10, first 2 shown]
	ds_read_b128 v[95:98], v54
	v_mul_lo_u32 v41, v0, s2
	s_mul_hi_u32 s8, s6, s3
	v_mov_b32_e32 v42, 0
	s_mul_i32 s6, s6, s3
	s_add_i32 s7, s8, s7
	s_waitcnt vmcnt(0) lgkmcnt(0)
	s_lshl_b64 s[8:9], s[6:7], 4
	s_mul_i32 s6, s2, 0x79
	v_lshlrev_b64 v[43:44], 4, v[41:42]
	v_add_nc_u32_e32 v41, s6, v41
	s_add_u32 s7, s18, s8
	s_addc_u32 s8, s19, s9
	s_lshl_b64 s[2:3], s[4:5], 4
	s_barrier
	v_lshlrev_b64 v[45:46], 4, v[41:42]
	v_add_nc_u32_e32 v41, s6, v41
	s_add_u32 s2, s7, s2
	s_addc_u32 s3, s8, s3
	v_add_co_u32 v43, vcc_lo, s2, v43
	v_lshlrev_b64 v[47:48], 4, v[41:42]
	v_add_nc_u32_e32 v41, s6, v41
	v_add_co_ci_u32_e32 v44, vcc_lo, s3, v44, vcc_lo
	v_add_co_u32 v45, vcc_lo, s2, v45
	v_lshlrev_b64 v[49:50], 4, v[41:42]
	v_add_nc_u32_e32 v41, s6, v41
	v_add_co_ci_u32_e32 v46, vcc_lo, s3, v46, vcc_lo
	;; [unrolled: 4-line block ×4, first 2 shown]
	v_add_co_u32 v51, vcc_lo, s2, v51
	v_lshlrev_b64 v[101:102], 4, v[41:42]
	v_add_co_ci_u32_e32 v52, vcc_lo, s3, v52, vcc_lo
	v_add_co_u32 v99, vcc_lo, s2, v99
	v_add_co_ci_u32_e32 v100, vcc_lo, s3, v100, vcc_lo
	v_add_nc_u32_e32 v41, s6, v41
	buffer_gl0_inv
	v_mul_f64 v[103:104], v[55:56], v[3:4]
	v_mul_f64 v[105:106], v[59:60], v[19:20]
	;; [unrolled: 1-line block ×20, first 2 shown]
	v_fma_f64 v[57:58], v[57:58], v[1:2], -v[103:104]
	v_fma_f64 v[61:62], v[61:62], v[17:18], -v[105:106]
	v_fma_f64 v[0:1], v[55:56], v[1:2], v[3:4]
	v_fma_f64 v[55:56], v[59:60], v[17:18], v[19:20]
	v_fma_f64 v[65:66], v[65:66], v[5:6], -v[107:108]
	v_fma_f64 v[69:70], v[69:70], v[37:38], -v[109:110]
	v_fma_f64 v[2:3], v[63:64], v[5:6], v[7:8]
	v_fma_f64 v[4:5], v[67:68], v[37:38], v[39:40]
	;; [unrolled: 1-line block ×3, first 2 shown]
	v_fma_f64 v[17:18], v[73:74], v[29:30], -v[31:32]
	v_fma_f64 v[19:20], v[75:76], v[21:22], v[113:114]
	v_fma_f64 v[21:22], v[77:78], v[21:22], -v[23:24]
	v_fma_f64 v[31:32], v[79:80], v[13:14], v[115:116]
	v_fma_f64 v[13:14], v[81:82], v[13:14], -v[15:16]
	v_fma_f64 v[23:24], v[85:86], v[33:34], -v[117:118]
	v_fma_f64 v[29:30], v[83:84], v[33:34], v[35:36]
	v_add_co_u32 v59, vcc_lo, s2, v101
	v_fma_f64 v[15:16], v[93:94], v[25:26], -v[121:122]
	v_fma_f64 v[25:26], v[91:92], v[25:26], v[27:28]
	v_fma_f64 v[27:28], v[87:88], v[9:10], v[119:120]
	v_fma_f64 v[8:9], v[89:90], v[9:10], -v[11:12]
	v_add_co_ci_u32_e32 v60, vcc_lo, s3, v102, vcc_lo
	v_add_f64 v[10:11], v[57:58], -v[61:62]
	v_add_f64 v[33:34], v[57:58], v[61:62]
	v_add_f64 v[39:40], v[0:1], v[55:56]
	v_add_f64 v[63:64], v[0:1], -v[55:56]
	v_add_f64 v[0:1], v[95:96], v[0:1]
	v_add_f64 v[57:58], v[97:98], v[57:58]
	;; [unrolled: 1-line block ×3, first 2 shown]
	v_add_f64 v[71:72], v[2:3], -v[4:5]
	v_add_f64 v[35:36], v[65:66], -v[69:70]
	v_add_f64 v[37:38], v[65:66], v[69:70]
	v_add_f64 v[73:74], v[17:18], -v[23:24]
	v_add_f64 v[77:78], v[17:18], v[23:24]
	v_add_f64 v[75:76], v[6:7], v[29:30]
	v_add_f64 v[79:80], v[6:7], -v[29:30]
	v_add_f64 v[81:82], v[21:22], -v[15:16]
	v_add_f64 v[85:86], v[21:22], v[15:16]
	v_add_f64 v[91:92], v[31:32], v[27:28]
	v_add_f64 v[89:90], v[13:14], -v[8:9]
	v_add_f64 v[93:94], v[13:14], v[8:9]
	v_add_f64 v[101:102], v[31:32], -v[27:28]
	v_mul_f64 v[103:104], v[10:11], s[12:13]
	v_mul_f64 v[111:112], v[33:34], s[24:25]
	;; [unrolled: 1-line block ×4, first 2 shown]
	v_add_f64 v[0:1], v[0:1], v[2:3]
	v_add_f64 v[2:3], v[57:58], v[65:66]
	v_mul_f64 v[109:110], v[10:11], s[14:15]
	v_mul_f64 v[10:11], v[10:11], s[16:17]
	;; [unrolled: 1-line block ×16, first 2 shown]
	v_fma_f64 v[179:180], v[39:40], s[24:25], v[103:104]
	v_fma_f64 v[189:190], v[63:64], s[30:31], v[111:112]
	v_fma_f64 v[103:104], v[39:40], s[24:25], -v[103:104]
	v_fma_f64 v[181:182], v[39:40], s[20:21], v[105:106]
	v_add_f64 v[0:1], v[0:1], v[6:7]
	v_add_f64 v[2:3], v[2:3], v[17:18]
	v_fma_f64 v[105:106], v[39:40], s[20:21], -v[105:106]
	v_fma_f64 v[183:184], v[39:40], s[22:23], v[107:108]
	v_fma_f64 v[107:108], v[39:40], s[22:23], -v[107:108]
	v_fma_f64 v[185:186], v[39:40], s[26:27], v[109:110]
	;; [unrolled: 2-line block ×4, first 2 shown]
	v_fma_f64 v[111:112], v[63:64], s[28:29], v[113:114]
	v_fma_f64 v[191:192], v[63:64], s[36:37], v[115:116]
	;; [unrolled: 1-line block ×8, first 2 shown]
	v_mul_f64 v[57:58], v[73:74], s[0:1]
	v_mul_f64 v[65:66], v[73:74], s[40:41]
	;; [unrolled: 1-line block ×4, first 2 shown]
	v_add_f64 v[0:1], v[0:1], v[19:20]
	v_add_f64 v[2:3], v[2:3], v[21:22]
	v_mul_f64 v[73:74], v[73:74], s[14:15]
	v_mul_f64 v[139:140], v[77:78], s[22:23]
	v_fma_f64 v[63:64], v[67:68], s[20:21], v[119:120]
	v_fma_f64 v[197:198], v[71:72], s[28:29], v[121:122]
	v_mul_f64 v[141:142], v[77:78], s[34:35]
	v_fma_f64 v[119:120], v[67:68], s[20:21], -v[119:120]
	v_fma_f64 v[121:122], v[71:72], s[10:11], v[121:122]
	v_fma_f64 v[199:200], v[67:68], s[26:27], v[123:124]
	;; [unrolled: 1-line block ×3, first 2 shown]
	v_add_f64 v[103:104], v[95:96], v[103:104]
	v_add_f64 v[39:40], v[97:98], v[39:40]
	;; [unrolled: 1-line block ×3, first 2 shown]
	v_mul_f64 v[143:144], v[77:78], s[20:21]
	v_fma_f64 v[123:124], v[67:68], s[26:27], -v[123:124]
	v_fma_f64 v[203:204], v[67:68], s[34:35], v[127:128]
	v_fma_f64 v[127:128], v[67:68], s[34:35], -v[127:128]
	v_fma_f64 v[205:206], v[67:68], s[22:23], v[131:132]
	;; [unrolled: 2-line block ×3, first 2 shown]
	v_fma_f64 v[35:36], v[67:68], s[24:25], -v[35:36]
	v_add_f64 v[0:1], v[0:1], v[31:32]
	v_add_f64 v[2:3], v[2:3], v[13:14]
	;; [unrolled: 1-line block ×5, first 2 shown]
	v_fma_f64 v[67:68], v[71:72], s[16:17], v[129:130]
	v_add_f64 v[105:106], v[95:96], v[105:106]
	v_add_f64 v[181:182], v[95:96], v[183:184]
	;; [unrolled: 1-line block ×3, first 2 shown]
	v_mul_f64 v[145:146], v[77:78], s[24:25]
	v_fma_f64 v[209:210], v[71:72], s[0:1], v[133:134]
	v_add_f64 v[107:108], v[95:96], v[107:108]
	v_add_f64 v[185:186], v[95:96], v[185:186]
	;; [unrolled: 1-line block ×3, first 2 shown]
	v_mul_f64 v[77:78], v[77:78], s[26:27]
	v_fma_f64 v[211:212], v[71:72], s[12:13], v[37:38]
	v_add_f64 v[109:110], v[95:96], v[109:110]
	v_add_f64 v[187:188], v[95:96], v[187:188]
	;; [unrolled: 1-line block ×3, first 2 shown]
	v_fma_f64 v[37:38], v[71:72], s[30:31], v[37:38]
	v_add_f64 v[10:11], v[95:96], v[10:11]
	v_add_f64 v[33:34], v[97:98], v[33:34]
	v_fma_f64 v[133:134], v[71:72], s[36:37], v[133:134]
	v_add_f64 v[95:96], v[97:98], v[117:118]
	v_fma_f64 v[129:130], v[71:72], s[40:41], v[129:130]
	;; [unrolled: 2-line block ×3, first 2 shown]
	v_add_f64 v[97:98], v[97:98], v[113:114]
	v_add_f64 v[0:1], v[0:1], v[27:28]
	;; [unrolled: 1-line block ×4, first 2 shown]
	v_add_f64 v[87:88], v[19:20], -v[25:26]
	v_mul_f64 v[147:148], v[81:82], s[14:15]
	v_mul_f64 v[149:150], v[81:82], s[36:37]
	;; [unrolled: 1-line block ×6, first 2 shown]
	v_fma_f64 v[71:72], v[75:76], s[22:23], v[57:58]
	v_fma_f64 v[57:58], v[75:76], s[22:23], -v[57:58]
	v_fma_f64 v[213:214], v[75:76], s[34:35], v[65:66]
	v_fma_f64 v[65:66], v[75:76], s[34:35], -v[65:66]
	;; [unrolled: 2-line block ×5, first 2 shown]
	v_fma_f64 v[75:76], v[79:80], s[36:37], v[139:140]
	v_add_f64 v[8:9], v[63:64], v[12:13]
	v_add_f64 v[12:13], v[197:198], v[31:32]
	v_mul_f64 v[157:158], v[85:86], s[22:23]
	v_fma_f64 v[139:140], v[79:80], s[0:1], v[139:140]
	v_fma_f64 v[221:222], v[79:80], s[16:17], v[141:142]
	v_add_f64 v[27:28], v[119:120], v[103:104]
	v_add_f64 v[31:32], v[121:122], v[39:40]
	;; [unrolled: 1-line block ×4, first 2 shown]
	v_mul_f64 v[159:160], v[85:86], s[24:25]
	v_fma_f64 v[223:224], v[79:80], s[10:11], v[143:144]
	v_add_f64 v[103:104], v[123:124], v[105:106]
	v_add_f64 v[105:106], v[203:204], v[181:182]
	v_add_f64 v[67:68], v[67:68], v[183:184]
	v_mul_f64 v[161:162], v[85:86], s[34:35]
	v_fma_f64 v[225:226], v[79:80], s[30:31], v[145:146]
	v_add_f64 v[107:108], v[127:128], v[107:108]
	v_add_f64 v[111:112], v[205:206], v[185:186]
	v_add_f64 v[113:114], v[209:210], v[189:190]
	;; [unrolled: 5-line block ×3, first 2 shown]
	v_fma_f64 v[77:78], v[79:80], s[14:15], v[77:78]
	v_add_f64 v[10:11], v[35:36], v[10:11]
	v_add_f64 v[33:34], v[37:38], v[33:34]
	v_fma_f64 v[145:146], v[79:80], s[12:13], v[145:146]
	v_add_f64 v[35:36], v[133:134], v[95:96]
	v_fma_f64 v[143:144], v[79:80], s[28:29], v[143:144]
	;; [unrolled: 2-line block ×3, first 2 shown]
	v_add_f64 v[95:96], v[125:126], v[97:98]
	v_add_f64 v[0:1], v[0:1], v[25:26]
	;; [unrolled: 1-line block ×3, first 2 shown]
	v_mul_f64 v[163:164], v[89:90], s[16:17]
	v_mul_f64 v[171:172], v[93:94], s[34:35]
	v_fma_f64 v[79:80], v[83:84], s[26:27], v[147:148]
	v_fma_f64 v[147:148], v[83:84], s[26:27], -v[147:148]
	v_fma_f64 v[229:230], v[83:84], s[22:23], v[149:150]
	v_fma_f64 v[149:150], v[83:84], s[22:23], -v[149:150]
	;; [unrolled: 2-line block ×5, first 2 shown]
	v_fma_f64 v[83:84], v[87:88], s[38:39], v[155:156]
	v_add_f64 v[8:9], v[71:72], v[8:9]
	v_add_f64 v[12:13], v[75:76], v[12:13]
	v_mul_f64 v[165:166], v[89:90], s[30:31]
	v_mul_f64 v[167:168], v[89:90], s[14:15]
	;; [unrolled: 1-line block ×5, first 2 shown]
	v_fma_f64 v[155:156], v[87:88], s[14:15], v[155:156]
	v_fma_f64 v[233:234], v[87:88], s[0:1], v[157:158]
	v_add_f64 v[14:15], v[57:58], v[27:28]
	v_add_f64 v[25:26], v[139:140], v[31:32]
	;; [unrolled: 1-line block ×4, first 2 shown]
	v_mul_f64 v[175:176], v[93:94], s[26:27]
	v_fma_f64 v[235:236], v[87:88], s[30:31], v[159:160]
	v_add_f64 v[39:40], v[65:66], v[103:104]
	v_add_f64 v[57:58], v[215:216], v[105:106]
	v_add_f64 v[63:64], v[223:224], v[67:68]
	v_mul_f64 v[177:178], v[93:94], s[20:21]
	v_fma_f64 v[237:238], v[87:88], s[40:41], v[161:162]
	v_add_f64 v[65:66], v[135:136], v[107:108]
	v_add_f64 v[67:68], v[217:218], v[111:112]
	v_add_f64 v[71:72], v[225:226], v[113:114]
	;; [unrolled: 5-line block ×3, first 2 shown]
	v_fma_f64 v[85:86], v[87:88], s[28:29], v[85:86]
	v_add_f64 v[10:11], v[73:74], v[10:11]
	v_add_f64 v[33:34], v[77:78], v[33:34]
	v_fma_f64 v[161:162], v[87:88], s[16:17], v[161:162]
	v_add_f64 v[35:36], v[145:146], v[35:36]
	v_fma_f64 v[159:160], v[87:88], s[12:13], v[159:160]
	;; [unrolled: 2-line block ×3, first 2 shown]
	v_add_f64 v[73:74], v[141:142], v[95:96]
	v_add_f64 v[0:1], v[0:1], v[29:30]
	;; [unrolled: 1-line block ×3, first 2 shown]
	v_fma_f64 v[87:88], v[91:92], s[34:35], v[163:164]
	v_fma_f64 v[19:20], v[101:102], s[40:41], v[171:172]
	v_add_f64 v[8:9], v[79:80], v[8:9]
	v_add_f64 v[12:13], v[83:84], v[12:13]
	v_fma_f64 v[163:164], v[91:92], s[34:35], -v[163:164]
	v_fma_f64 v[241:242], v[91:92], s[24:25], v[165:166]
	v_fma_f64 v[165:166], v[91:92], s[24:25], -v[165:166]
	v_fma_f64 v[243:244], v[91:92], s[26:27], v[167:168]
	;; [unrolled: 2-line block ×5, first 2 shown]
	v_add_f64 v[23:24], v[155:156], v[25:26]
	v_add_f64 v[25:26], v[229:230], v[27:28]
	;; [unrolled: 1-line block ×3, first 2 shown]
	v_fma_f64 v[21:22], v[101:102], s[16:17], v[171:172]
	v_fma_f64 v[171:172], v[101:102], s[30:31], v[173:174]
	;; [unrolled: 1-line block ×3, first 2 shown]
	v_add_f64 v[29:30], v[149:150], v[39:40]
	v_add_f64 v[31:32], v[231:232], v[57:58]
	v_add_f64 v[39:40], v[235:236], v[63:64]
	v_fma_f64 v[249:250], v[101:102], s[10:11], v[177:178]
	v_add_f64 v[57:58], v[6:7], v[65:66]
	v_add_f64 v[63:64], v[151:152], v[67:68]
	v_add_f64 v[65:66], v[237:238], v[71:72]
	v_fma_f64 v[251:252], v[101:102], s[36:37], v[93:94]
	;; [unrolled: 4-line block ×3, first 2 shown]
	v_add_f64 v[77:78], v[81:82], v[10:11]
	v_add_f64 v[79:80], v[85:86], v[33:34]
	v_fma_f64 v[177:178], v[101:102], s[28:29], v[177:178]
	v_add_f64 v[81:82], v[161:162], v[35:36]
	v_fma_f64 v[175:176], v[101:102], s[14:15], v[175:176]
	v_add_f64 v[83:84], v[159:160], v[37:38]
	v_add_f64 v[14:15], v[147:148], v[14:15]
	;; [unrolled: 1-line block ×27, first 2 shown]
	v_lshlrev_b64 v[101:102], 4, v[41:42]
	v_add_nc_u32_e32 v41, s6, v41
	ds_write_b128 v54, v[0:3] offset:1936
	ds_write_b128 v54, v[8:11] offset:3872
	;; [unrolled: 1-line block ×10, first 2 shown]
	ds_write_b128 v54, v[55:58]
	s_waitcnt lgkmcnt(0)
	s_barrier
	buffer_gl0_inv
	ds_read_b128 v[0:3], v53
	ds_read_b128 v[4:7], v53 offset:1936
	ds_read_b128 v[8:11], v53 offset:3872
	;; [unrolled: 1-line block ×10, first 2 shown]
	v_lshlrev_b64 v[253:254], 4, v[41:42]
	v_add_nc_u32_e32 v41, s6, v41
	v_add_co_u32 v61, vcc_lo, s2, v101
	v_add_co_ci_u32_e32 v62, vcc_lo, s3, v102, vcc_lo
	v_lshlrev_b64 v[63:64], 4, v[41:42]
	v_add_nc_u32_e32 v41, s6, v41
	v_add_co_u32 v65, vcc_lo, s2, v253
	v_add_co_ci_u32_e32 v66, vcc_lo, s3, v254, vcc_lo
	v_lshlrev_b64 v[40:41], 4, v[41:42]
	v_add_co_u32 v57, vcc_lo, s2, v63
	v_add_co_ci_u32_e32 v58, vcc_lo, s3, v64, vcc_lo
	v_add_co_u32 v40, vcc_lo, s2, v40
	v_add_co_ci_u32_e32 v41, vcc_lo, s3, v41, vcc_lo
	s_waitcnt lgkmcnt(10)
	global_store_dwordx4 v[43:44], v[0:3], off
	s_waitcnt lgkmcnt(9)
	global_store_dwordx4 v[45:46], v[4:7], off
	;; [unrolled: 2-line block ×11, first 2 shown]
	s_endpgm
	.section	.rodata,"a",@progbits
	.p2align	6, 0x0
	.amdhsa_kernel fft_rtc_back_len1331_factors_11_11_11_wgs_121_tpt_121_dp_op_CI_CI_sbrc_unaligned
		.amdhsa_group_segment_fixed_size 0
		.amdhsa_private_segment_fixed_size 0
		.amdhsa_kernarg_size 104
		.amdhsa_user_sgpr_count 6
		.amdhsa_user_sgpr_private_segment_buffer 1
		.amdhsa_user_sgpr_dispatch_ptr 0
		.amdhsa_user_sgpr_queue_ptr 0
		.amdhsa_user_sgpr_kernarg_segment_ptr 1
		.amdhsa_user_sgpr_dispatch_id 0
		.amdhsa_user_sgpr_flat_scratch_init 0
		.amdhsa_user_sgpr_private_segment_size 0
		.amdhsa_wavefront_size32 1
		.amdhsa_uses_dynamic_stack 0
		.amdhsa_system_sgpr_private_segment_wavefront_offset 0
		.amdhsa_system_sgpr_workgroup_id_x 1
		.amdhsa_system_sgpr_workgroup_id_y 0
		.amdhsa_system_sgpr_workgroup_id_z 0
		.amdhsa_system_sgpr_workgroup_info 0
		.amdhsa_system_vgpr_workitem_id 0
		.amdhsa_next_free_vgpr 255
		.amdhsa_next_free_sgpr 44
		.amdhsa_reserve_vcc 1
		.amdhsa_reserve_flat_scratch 0
		.amdhsa_float_round_mode_32 0
		.amdhsa_float_round_mode_16_64 0
		.amdhsa_float_denorm_mode_32 3
		.amdhsa_float_denorm_mode_16_64 3
		.amdhsa_dx10_clamp 1
		.amdhsa_ieee_mode 1
		.amdhsa_fp16_overflow 0
		.amdhsa_workgroup_processor_mode 1
		.amdhsa_memory_ordered 1
		.amdhsa_forward_progress 0
		.amdhsa_shared_vgpr_count 0
		.amdhsa_exception_fp_ieee_invalid_op 0
		.amdhsa_exception_fp_denorm_src 0
		.amdhsa_exception_fp_ieee_div_zero 0
		.amdhsa_exception_fp_ieee_overflow 0
		.amdhsa_exception_fp_ieee_underflow 0
		.amdhsa_exception_fp_ieee_inexact 0
		.amdhsa_exception_int_div_zero 0
	.end_amdhsa_kernel
	.text
.Lfunc_end0:
	.size	fft_rtc_back_len1331_factors_11_11_11_wgs_121_tpt_121_dp_op_CI_CI_sbrc_unaligned, .Lfunc_end0-fft_rtc_back_len1331_factors_11_11_11_wgs_121_tpt_121_dp_op_CI_CI_sbrc_unaligned
                                        ; -- End function
	.section	.AMDGPU.csdata,"",@progbits
; Kernel info:
; codeLenInByte = 11908
; NumSgprs: 46
; NumVgprs: 255
; ScratchSize: 0
; MemoryBound: 0
; FloatMode: 240
; IeeeMode: 1
; LDSByteSize: 0 bytes/workgroup (compile time only)
; SGPRBlocks: 5
; VGPRBlocks: 31
; NumSGPRsForWavesPerEU: 46
; NumVGPRsForWavesPerEU: 255
; Occupancy: 4
; WaveLimiterHint : 1
; COMPUTE_PGM_RSRC2:SCRATCH_EN: 0
; COMPUTE_PGM_RSRC2:USER_SGPR: 6
; COMPUTE_PGM_RSRC2:TRAP_HANDLER: 0
; COMPUTE_PGM_RSRC2:TGID_X_EN: 1
; COMPUTE_PGM_RSRC2:TGID_Y_EN: 0
; COMPUTE_PGM_RSRC2:TGID_Z_EN: 0
; COMPUTE_PGM_RSRC2:TIDIG_COMP_CNT: 0
	.text
	.p2alignl 6, 3214868480
	.fill 48, 4, 3214868480
	.type	__hip_cuid_5e12195d9c2dda8d,@object ; @__hip_cuid_5e12195d9c2dda8d
	.section	.bss,"aw",@nobits
	.globl	__hip_cuid_5e12195d9c2dda8d
__hip_cuid_5e12195d9c2dda8d:
	.byte	0                               ; 0x0
	.size	__hip_cuid_5e12195d9c2dda8d, 1

	.ident	"AMD clang version 19.0.0git (https://github.com/RadeonOpenCompute/llvm-project roc-6.4.0 25133 c7fe45cf4b819c5991fe208aaa96edf142730f1d)"
	.section	".note.GNU-stack","",@progbits
	.addrsig
	.addrsig_sym __hip_cuid_5e12195d9c2dda8d
	.amdgpu_metadata
---
amdhsa.kernels:
  - .args:
      - .actual_access:  read_only
        .address_space:  global
        .offset:         0
        .size:           8
        .value_kind:     global_buffer
      - .offset:         8
        .size:           8
        .value_kind:     by_value
      - .actual_access:  read_only
        .address_space:  global
        .offset:         16
        .size:           8
        .value_kind:     global_buffer
      - .actual_access:  read_only
        .address_space:  global
        .offset:         24
        .size:           8
        .value_kind:     global_buffer
      - .actual_access:  read_only
        .address_space:  global
        .offset:         32
        .size:           8
        .value_kind:     global_buffer
      - .offset:         40
        .size:           8
        .value_kind:     by_value
      - .actual_access:  read_only
        .address_space:  global
        .offset:         48
        .size:           8
        .value_kind:     global_buffer
      - .actual_access:  read_only
        .address_space:  global
        .offset:         56
        .size:           8
        .value_kind:     global_buffer
      - .offset:         64
        .size:           4
        .value_kind:     by_value
      - .actual_access:  read_only
        .address_space:  global
        .offset:         72
        .size:           8
        .value_kind:     global_buffer
      - .actual_access:  read_only
        .address_space:  global
        .offset:         80
        .size:           8
        .value_kind:     global_buffer
      - .actual_access:  read_only
        .address_space:  global
        .offset:         88
        .size:           8
        .value_kind:     global_buffer
      - .actual_access:  write_only
        .address_space:  global
        .offset:         96
        .size:           8
        .value_kind:     global_buffer
    .group_segment_fixed_size: 0
    .kernarg_segment_align: 8
    .kernarg_segment_size: 104
    .language:       OpenCL C
    .language_version:
      - 2
      - 0
    .max_flat_workgroup_size: 121
    .name:           fft_rtc_back_len1331_factors_11_11_11_wgs_121_tpt_121_dp_op_CI_CI_sbrc_unaligned
    .private_segment_fixed_size: 0
    .sgpr_count:     46
    .sgpr_spill_count: 0
    .symbol:         fft_rtc_back_len1331_factors_11_11_11_wgs_121_tpt_121_dp_op_CI_CI_sbrc_unaligned.kd
    .uniform_work_group_size: 1
    .uses_dynamic_stack: false
    .vgpr_count:     255
    .vgpr_spill_count: 0
    .wavefront_size: 32
    .workgroup_processor_mode: 1
amdhsa.target:   amdgcn-amd-amdhsa--gfx1030
amdhsa.version:
  - 1
  - 2
...

	.end_amdgpu_metadata
